;; amdgpu-corpus repo=zjin-lcf/HeCBench kind=compiled arch=gfx90a opt=O3
	.text
	.amdgcn_target "amdgcn-amd-amdhsa--gfx90a"
	.amdhsa_code_object_version 6
	.protected	_Z11elementwiseiiPKfS0_S0_PfS1_S1_S0_S1_ ; -- Begin function _Z11elementwiseiiPKfS0_S0_PfS1_S1_S0_S1_
	.globl	_Z11elementwiseiiPKfS0_S0_PfS1_S1_S0_S1_
	.p2align	8
	.type	_Z11elementwiseiiPKfS0_S0_PfS1_S1_S0_S1_,@function
_Z11elementwiseiiPKfS0_S0_PfS1_S1_S0_S1_: ; @_Z11elementwiseiiPKfS0_S0_PfS1_S1_S0_S1_
; %bb.0:
	s_load_dword s2, s[4:5], 0x54
	s_load_dwordx2 s[0:1], s[4:5], 0x0
	s_waitcnt lgkmcnt(0)
	s_and_b32 s2, s2, 0xffff
	s_mul_i32 s6, s6, s2
	v_add_u32_e32 v0, s6, v0
	s_mul_i32 s1, s1, s0
	v_cmp_gt_i32_e32 vcc, s1, v0
	s_and_saveexec_b64 s[2:3], vcc
	s_cbranch_execz .LBB0_10
; %bb.1:
	s_abs_i32 s1, s0
	v_cvt_f32_u32_e32 v1, s1
	s_sub_i32 s2, 0, s1
	v_sub_u32_e32 v3, 0, v0
	v_max_i32_e32 v3, v0, v3
	v_rcp_iflag_f32_e32 v1, v1
	v_xor_b32_e32 v2, s0, v0
	v_ashrrev_i32_e32 v2, 31, v2
	s_load_dwordx8 s[8:15], s[4:5], 0x8
	v_mul_f32_e32 v1, 0x4f7ffffe, v1
	v_cvt_u32_f32_e32 v1, v1
	s_waitcnt lgkmcnt(0)
	v_mov_b32_e32 v30, s9
	v_mul_lo_u32 v4, s2, v1
	v_mul_hi_u32 v4, v1, v4
	v_add_u32_e32 v1, v1, v4
	v_mul_hi_u32 v1, v3, v1
	v_mul_lo_u32 v4, v1, s1
	v_sub_u32_e32 v3, v3, v4
	v_add_u32_e32 v5, 1, v1
	v_cmp_le_u32_e32 vcc, s1, v3
	v_subrev_u32_e32 v4, s1, v3
	v_cndmask_b32_e32 v1, v1, v5, vcc
	v_cndmask_b32_e32 v3, v3, v4, vcc
	v_add_u32_e32 v4, 1, v1
	v_cmp_le_u32_e32 vcc, s1, v3
	v_cndmask_b32_e32 v1, v1, v4, vcc
	v_xor_b32_e32 v1, v1, v2
	v_sub_u32_e32 v1, v1, v2
	v_mul_lo_u32 v2, v1, s0
	v_sub_u32_e32 v8, v0, v2
	s_lshl_b32 s2, s0, 2
	v_mad_u64_u32 v[10:11], s[6:7], s2, v1, v[8:9]
	v_ashrrev_i32_e32 v11, 31, v10
	v_lshlrev_b64 v[2:3], 2, v[10:11]
	v_mov_b32_e32 v1, s11
	v_add_co_u32_e32 v12, vcc, s10, v2
	v_addc_co_u32_e32 v13, vcc, v1, v3, vcc
	v_add_co_u32_e32 v14, vcc, s8, v2
	v_ashrrev_i32_e32 v9, 31, v8
	v_addc_co_u32_e32 v15, vcc, v30, v3, vcc
	v_lshlrev_b64 v[16:17], 2, v[8:9]
	v_mov_b32_e32 v31, s13
	v_add_co_u32_e32 v16, vcc, s12, v16
	s_ashr_i32 s3, s2, 31
	v_addc_co_u32_e32 v17, vcc, v31, v17, vcc
	s_lshl_b64 s[6:7], s[2:3], 2
	v_mov_b32_e32 v4, s7
	v_add_co_u32_e32 v18, vcc, s6, v16
	s_ashr_i32 s1, s0, 31
	v_addc_co_u32_e32 v19, vcc, v17, v4, vcc
	s_lshl_b64 s[6:7], s[0:1], 2
	global_load_dword v5, v[12:13], off
	v_mov_b32_e32 v32, s7
	v_add_co_u32_e32 v12, vcc, s6, v12
	v_addc_co_u32_e32 v13, vcc, v13, v32, vcc
	global_load_dword v7, v[14:15], off
	global_load_dword v9, v[16:17], off
	;; [unrolled: 1-line block ×4, first 2 shown]
	v_add_co_u32_e32 v12, vcc, s6, v14
	s_add_i32 s1, s2, s0
	v_addc_co_u32_e32 v13, vcc, v15, v32, vcc
	v_add_u32_e32 v14, s1, v8
	s_add_i32 s1, s0, s0
	global_load_dword v6, v[12:13], off
	v_add_co_u32_e32 v12, vcc, s6, v16
	v_add_u32_e32 v16, s1, v10
	v_addc_co_u32_e32 v13, vcc, v17, v32, vcc
	v_ashrrev_i32_e32 v17, 31, v16
	v_lshlrev_b64 v[18:19], 2, v[16:17]
	v_add_co_u32_e32 v20, vcc, s10, v18
	s_mul_i32 s1, s0, -3
	v_addc_co_u32_e32 v21, vcc, v1, v19, vcc
	v_add_u32_e32 v24, s1, v14
	v_add_co_u32_e32 v22, vcc, s8, v18
	v_ashrrev_i32_e32 v25, 31, v24
	v_addc_co_u32_e32 v23, vcc, v30, v19, vcc
	v_lshlrev_b64 v[26:27], 2, v[24:25]
	v_add_u32_e32 v24, s2, v24
	v_add_co_u32_e32 v26, vcc, s12, v26
	v_ashrrev_i32_e32 v25, 31, v24
	v_addc_co_u32_e32 v27, vcc, v31, v27, vcc
	v_lshlrev_b64 v[28:29], 2, v[24:25]
	;; [unrolled: 5-line block ×3, first 2 shown]
	global_load_dword v20, v[20:21], off
	v_add_u32_e32 v24, s1, v24
	global_load_dword v22, v[22:23], off
	s_nop 0
	global_load_dword v21, v[26:27], off
	global_load_dword v23, v[28:29], off
	v_add_co_u32_e32 v26, vcc, s10, v16
	v_addc_co_u32_e32 v27, vcc, v1, v17, vcc
	global_load_dword v1, v[26:27], off
	v_add_co_u32_e32 v26, vcc, s8, v16
	v_addc_co_u32_e32 v27, vcc, v30, v17, vcc
	v_ashrrev_i32_e32 v25, 31, v24
	global_load_dword v28, v[26:27], off
	v_lshlrev_b64 v[26:27], 2, v[24:25]
	v_add_u32_e32 v24, s2, v24
	v_add_co_u32_e32 v26, vcc, s12, v26
	v_ashrrev_i32_e32 v25, 31, v24
	v_addc_co_u32_e32 v27, vcc, v31, v27, vcc
	v_lshlrev_b64 v[24:25], 2, v[24:25]
	v_add_co_u32_e32 v24, vcc, s12, v24
	v_ashrrev_i32_e32 v15, 31, v14
	v_addc_co_u32_e32 v25, vcc, v31, v25, vcc
	v_lshlrev_b64 v[14:15], 2, v[14:15]
	v_add_co_u32_e32 v14, vcc, s12, v14
	global_load_dword v29, v[26:27], off
	global_load_dword v30, v[24:25], off
	v_addc_co_u32_e32 v15, vcc, v31, v15, vcc
	global_load_dword v8, v[12:13], off
	global_load_dword v10, v[14:15], off
	v_mov_b32_e32 v26, s15
	v_add_co_u32_e32 v14, vcc, s14, v2
	v_addc_co_u32_e32 v15, vcc, v26, v3, vcc
	v_add_co_u32_e32 v24, vcc, s6, v14
	s_load_dwordx4 s[0:3], s[4:5], 0x38
	v_addc_co_u32_e32 v25, vcc, v15, v32, vcc
	s_mov_b32 s6, 0x3f200000
	s_waitcnt vmcnt(10)
	v_pk_add_f32 v[4:5], v[4:5], v[6:7]
	s_waitcnt vmcnt(6)
	v_pk_add_f32 v[2:3], v[20:21], v[22:23]
	v_mov_b32_e32 v12, v3
	v_pk_add_f32 v[2:3], v[2:3], v[12:13]
	v_add_co_u32_e32 v12, vcc, s14, v18
	v_addc_co_u32_e32 v13, vcc, v26, v19, vcc
	v_add_co_u32_e32 v16, vcc, s14, v16
	global_store_dword v[12:13], v2, off
	v_addc_co_u32_e32 v17, vcc, v26, v17, vcc
	s_waitcnt vmcnt(5)
	v_add_f32_e32 v1, v1, v28
	v_cmp_nlt_f32_e64 s[6:7], |v2|, s6
	s_waitcnt vmcnt(3)
	v_add_f32_e32 v3, v29, v30
	v_add_f32_e32 v12, v1, v3
	global_store_dword v[16:17], v12, off
	s_waitcnt vmcnt(2)
	v_pk_add_f32 v[6:7], v[8:9], v[10:11]
	v_pk_add_f32 v[4:5], v[4:5], v[6:7]
	global_store_dword v[14:15], v5, off
	global_store_dword v[24:25], v4, off
                                        ; implicit-def: $vgpr3
	s_and_saveexec_b64 s[8:9], s[6:7]
	s_xor_b64 s[6:7], exec, s[8:9]
	s_cbranch_execz .LBB0_3
; %bb.2:
	v_add_f32_e64 v1, |v2|, |v2|
	v_mul_f32_e32 v3, 0x3fb8aa3b, v1
	s_mov_b32 s8, 0x3fb8aa3b
	v_rndne_f32_e32 v6, v3
	v_sub_f32_e32 v7, v3, v6
	v_fma_f32 v3, v1, s8, -v3
	v_fmac_f32_e32 v3, 0x32a5705f, v1
	v_add_f32_e32 v3, v7, v3
	v_exp_f32_e32 v3, v3
	v_cvt_i32_f32_e32 v6, v6
	s_mov_b32 s8, 0xc2ce8ed0
	v_cmp_ngt_f32_e32 vcc, s8, v1
	s_mov_b32 s8, 0x42b17218
	v_ldexp_f32 v3, v3, v6
	v_cndmask_b32_e32 v3, 0, v3, vcc
	v_mov_b32_e32 v6, 0x7f800000
	v_cmp_nlt_f32_e32 vcc, s8, v1
	v_cndmask_b32_e32 v1, v6, v3, vcc
	v_add_f32_e32 v1, 1.0, v1
	v_rcp_f32_e32 v1, v1
	v_fma_f32 v3, v1, -2.0, 1.0
.LBB0_3:
	s_andn2_saveexec_b64 s[6:7], s[6:7]
; %bb.4:
	v_mul_f32_e32 v1, v2, v2
	v_mov_b32_e32 v3, 0x3ca908c9
	v_fmac_f32_e32 v3, 0xbbbac73d, v1
	v_mov_b32_e32 v6, 0xbd5c1c4e
	v_fmac_f32_e32 v6, v1, v3
	v_mov_b32_e32 v3, 0x3e088382
	v_fmac_f32_e32 v3, v1, v6
	v_mov_b32_e32 v6, 0xbeaaaa99
	v_fmac_f32_e32 v6, v1, v3
	v_mul_f32_e64 v3, |v2|, v6
	v_fma_f32 v3, v1, v3, |v2|
; %bb.5:
	s_or_b64 exec, exec, s[6:7]
	v_ashrrev_i32_e32 v1, 31, v0
	v_lshlrev_b64 v[0:1], 2, v[0:1]
	s_waitcnt lgkmcnt(0)
	v_mov_b32_e32 v7, s1
	v_add_co_u32_e32 v6, vcc, s0, v0
	v_addc_co_u32_e32 v7, vcc, v7, v1, vcc
	global_load_dword v8, v[6:7], off
	s_mov_b32 s0, 0xbfb8aa3b
	v_mul_f32_e32 v7, 0xbfb8aa3b, v5
	v_mul_f32_e32 v10, 0xbfb8aa3b, v4
	s_brev_b32 s9, -2
	v_rndne_f32_e32 v13, v7
	v_fma_f32 v14, v5, s0, -v7
	v_rndne_f32_e32 v15, v10
	v_fma_f32 v16, v4, s0, -v10
	v_bfi_b32 v9, s9, v3, v2
	v_sub_f32_e32 v2, v7, v13
	v_fmac_f32_e32 v14, 0xb2a5705f, v5
	v_sub_f32_e32 v7, v10, v15
	v_fmac_f32_e32 v16, 0xb2a5705f, v4
	v_add_f32_e32 v2, v2, v14
	v_cvt_i32_f32_e32 v3, v13
	v_add_f32_e32 v7, v7, v16
	v_exp_f32_e32 v2, v2
	v_cvt_i32_f32_e32 v13, v15
	v_exp_f32_e32 v7, v7
	v_mov_b32_e32 v11, s3
	v_add_co_u32_e32 v10, vcc, s2, v0
	s_mov_b32 s1, 0x42ce8ed0
	v_addc_co_u32_e32 v11, vcc, v11, v1, vcc
	v_ldexp_f32 v2, v2, v3
	v_cmp_nlt_f32_e32 vcc, s1, v5
	s_mov_b32 s8, 0xc2b17218
	v_ldexp_f32 v3, v7, v13
	v_cndmask_b32_e32 v2, 0, v2, vcc
	v_cmp_nlt_f32_e32 vcc, s1, v4
	v_mov_b32_e32 v6, 0x7f800000
	v_cndmask_b32_e32 v7, 0, v3, vcc
	v_cmp_ngt_f32_e32 vcc, s8, v5
	v_cndmask_b32_e32 v3, v6, v2, vcc
	v_cmp_ngt_f32_e32 vcc, s8, v4
	v_cndmask_b32_e32 v2, v6, v7, vcc
	v_pk_add_f32 v[2:3], v[2:3], 1.0 op_sel_hi:[1,0]
	v_div_scale_f32 v4, s[0:1], v3, v3, 1.0
	v_div_scale_f32 v7, s[0:1], v2, v2, 1.0
	v_rcp_f32_e32 v13, v4
	v_rcp_f32_e32 v14, v7
	v_div_scale_f32 v5, vcc, 1.0, v3, 1.0
	v_fma_f32 v16, -v4, v13, 1.0
	v_fma_f32 v17, -v7, v14, 1.0
	v_fmac_f32_e32 v13, v16, v13
	v_div_scale_f32 v15, s[0:1], 1.0, v2, 1.0
	v_fmac_f32_e32 v14, v17, v14
	v_mul_f32_e32 v16, v5, v13
	v_mul_f32_e32 v17, v15, v14
	v_fma_f32 v18, -v4, v16, v5
	v_fma_f32 v19, -v7, v17, v15
	v_fmac_f32_e32 v16, v18, v13
	v_fmac_f32_e32 v17, v19, v14
	v_fma_f32 v4, -v4, v16, v5
	v_fma_f32 v5, -v7, v17, v15
	v_div_fmas_f32 v4, v4, v13, v16
	s_mov_b64 vcc, s[0:1]
	v_div_fixup_f32 v3, v4, v3, 1.0
	v_div_fmas_f32 v4, v5, v14, v17
	s_load_dwordx4 s[4:7], s[4:5], 0x28
	v_div_fixup_f32 v2, v4, v2, 1.0
	s_mov_b32 s3, 0x3f200000
	s_waitcnt vmcnt(0)
	v_pk_mul_f32 v[4:5], v[2:3], v[8:9]
	v_mov_b32_e32 v4, v5
	v_pk_fma_f32 v[2:3], v[2:3], v[8:9], v[4:5]
	v_cmp_nlt_f32_e64 s[0:1], |v2|, s3
	global_store_dword v[10:11], v2, off
                                        ; implicit-def: $vgpr3
	s_and_saveexec_b64 s[2:3], s[0:1]
	s_xor_b64 s[0:1], exec, s[2:3]
	s_cbranch_execz .LBB0_7
; %bb.6:
	v_add_f32_e64 v3, |v2|, |v2|
	v_mul_f32_e32 v4, 0x3fb8aa3b, v3
	s_mov_b32 s2, 0x3fb8aa3b
	v_rndne_f32_e32 v5, v4
	v_sub_f32_e32 v7, v4, v5
	v_fma_f32 v4, v3, s2, -v4
	v_fmac_f32_e32 v4, 0x32a5705f, v3
	v_add_f32_e32 v4, v7, v4
	v_exp_f32_e32 v4, v4
	v_cvt_i32_f32_e32 v5, v5
	s_mov_b32 s2, 0xc2ce8ed0
	v_cmp_ngt_f32_e32 vcc, s2, v3
	s_mov_b32 s2, 0x42b17218
	v_ldexp_f32 v4, v4, v5
	v_cndmask_b32_e32 v4, 0, v4, vcc
	v_cmp_nlt_f32_e32 vcc, s2, v3
	v_cndmask_b32_e32 v3, v6, v4, vcc
	v_add_f32_e32 v3, 1.0, v3
	v_rcp_f32_e32 v3, v3
	v_fma_f32 v3, v3, -2.0, 1.0
.LBB0_7:
	s_andn2_saveexec_b64 s[0:1], s[0:1]
; %bb.8:
	v_mul_f32_e32 v3, v2, v2
	v_mov_b32_e32 v4, 0x3ca908c9
	v_fmac_f32_e32 v4, 0xbbbac73d, v3
	v_mov_b32_e32 v5, 0xbd5c1c4e
	v_fmac_f32_e32 v5, v3, v4
	;; [unrolled: 2-line block ×4, first 2 shown]
	v_mul_f32_e64 v4, |v2|, v5
	v_fma_f32 v3, v3, v4, |v2|
; %bb.9:
	s_or_b64 exec, exec, s[0:1]
	v_mul_f32_e32 v4, 0xbfb8aa3b, v12
	s_mov_b32 s0, 0xbfb8aa3b
	v_rndne_f32_e32 v5, v4
	v_sub_f32_e32 v6, v4, v5
	v_fma_f32 v4, v12, s0, -v4
	v_fmac_f32_e32 v4, 0xb2a5705f, v12
	v_add_f32_e32 v4, v6, v4
	v_exp_f32_e32 v4, v4
	v_cvt_i32_f32_e32 v5, v5
	s_mov_b32 s0, 0x42ce8ed0
	v_cmp_nlt_f32_e32 vcc, s0, v12
	s_mov_b32 s0, 0xc2b17218
	v_ldexp_f32 v4, v4, v5
	v_cndmask_b32_e32 v4, 0, v4, vcc
	v_mov_b32_e32 v5, 0x7f800000
	v_cmp_ngt_f32_e32 vcc, s0, v12
	v_cndmask_b32_e32 v4, v5, v4, vcc
	v_add_f32_e32 v4, 1.0, v4
	v_div_scale_f32 v5, s[0:1], v4, v4, 1.0
	v_rcp_f32_e32 v6, v5
	s_brev_b32 s0, -2
	v_bfi_b32 v2, s0, v3, v2
	s_waitcnt lgkmcnt(0)
	v_mov_b32_e32 v3, s5
	v_fma_f32 v7, -v5, v6, 1.0
	v_fmac_f32_e32 v6, v7, v6
	v_div_scale_f32 v7, vcc, 1.0, v4, 1.0
	v_mul_f32_e32 v8, v7, v6
	v_fma_f32 v9, -v5, v8, v7
	v_fmac_f32_e32 v8, v9, v6
	v_fma_f32 v5, -v5, v8, v7
	v_div_fmas_f32 v5, v5, v6, v8
	v_div_fixup_f32 v4, v5, v4, 1.0
	v_mul_f32_e32 v4, v4, v2
	v_add_co_u32_e32 v2, vcc, s4, v0
	v_addc_co_u32_e32 v3, vcc, v3, v1, vcc
	global_store_dword v[2:3], v4, off
	v_mov_b32_e32 v2, s7
	v_add_co_u32_e32 v0, vcc, s6, v0
	v_addc_co_u32_e32 v1, vcc, v2, v1, vcc
	global_store_dword v[0:1], v4, off
.LBB0_10:
	s_endpgm
	.section	.rodata,"a",@progbits
	.p2align	6, 0x0
	.amdhsa_kernel _Z11elementwiseiiPKfS0_S0_PfS1_S1_S0_S1_
		.amdhsa_group_segment_fixed_size 0
		.amdhsa_private_segment_fixed_size 0
		.amdhsa_kernarg_size 328
		.amdhsa_user_sgpr_count 6
		.amdhsa_user_sgpr_private_segment_buffer 1
		.amdhsa_user_sgpr_dispatch_ptr 0
		.amdhsa_user_sgpr_queue_ptr 0
		.amdhsa_user_sgpr_kernarg_segment_ptr 1
		.amdhsa_user_sgpr_dispatch_id 0
		.amdhsa_user_sgpr_flat_scratch_init 0
		.amdhsa_user_sgpr_kernarg_preload_length 0
		.amdhsa_user_sgpr_kernarg_preload_offset 0
		.amdhsa_user_sgpr_private_segment_size 0
		.amdhsa_uses_dynamic_stack 0
		.amdhsa_system_sgpr_private_segment_wavefront_offset 0
		.amdhsa_system_sgpr_workgroup_id_x 1
		.amdhsa_system_sgpr_workgroup_id_y 0
		.amdhsa_system_sgpr_workgroup_id_z 0
		.amdhsa_system_sgpr_workgroup_info 0
		.amdhsa_system_vgpr_workitem_id 0
		.amdhsa_next_free_vgpr 33
		.amdhsa_next_free_sgpr 16
		.amdhsa_accum_offset 36
		.amdhsa_reserve_vcc 1
		.amdhsa_reserve_flat_scratch 0
		.amdhsa_float_round_mode_32 0
		.amdhsa_float_round_mode_16_64 0
		.amdhsa_float_denorm_mode_32 3
		.amdhsa_float_denorm_mode_16_64 3
		.amdhsa_dx10_clamp 1
		.amdhsa_ieee_mode 1
		.amdhsa_fp16_overflow 0
		.amdhsa_tg_split 0
		.amdhsa_exception_fp_ieee_invalid_op 0
		.amdhsa_exception_fp_denorm_src 0
		.amdhsa_exception_fp_ieee_div_zero 0
		.amdhsa_exception_fp_ieee_overflow 0
		.amdhsa_exception_fp_ieee_underflow 0
		.amdhsa_exception_fp_ieee_inexact 0
		.amdhsa_exception_int_div_zero 0
	.end_amdhsa_kernel
	.text
.Lfunc_end0:
	.size	_Z11elementwiseiiPKfS0_S0_PfS1_S1_S0_S1_, .Lfunc_end0-_Z11elementwiseiiPKfS0_S0_PfS1_S1_S0_S1_
                                        ; -- End function
	.section	.AMDGPU.csdata,"",@progbits
; Kernel info:
; codeLenInByte = 1928
; NumSgprs: 20
; NumVgprs: 33
; NumAgprs: 0
; TotalNumVgprs: 33
; ScratchSize: 0
; MemoryBound: 0
; FloatMode: 240
; IeeeMode: 1
; LDSByteSize: 0 bytes/workgroup (compile time only)
; SGPRBlocks: 2
; VGPRBlocks: 4
; NumSGPRsForWavesPerEU: 20
; NumVGPRsForWavesPerEU: 33
; AccumOffset: 36
; Occupancy: 8
; WaveLimiterHint : 0
; COMPUTE_PGM_RSRC2:SCRATCH_EN: 0
; COMPUTE_PGM_RSRC2:USER_SGPR: 6
; COMPUTE_PGM_RSRC2:TRAP_HANDLER: 0
; COMPUTE_PGM_RSRC2:TGID_X_EN: 1
; COMPUTE_PGM_RSRC2:TGID_Y_EN: 0
; COMPUTE_PGM_RSRC2:TGID_Z_EN: 0
; COMPUTE_PGM_RSRC2:TIDIG_COMP_CNT: 0
; COMPUTE_PGM_RSRC3_GFX90A:ACCUM_OFFSET: 8
; COMPUTE_PGM_RSRC3_GFX90A:TG_SPLIT: 0
	.text
	.protected	_Z4initPfi              ; -- Begin function _Z4initPfi
	.globl	_Z4initPfi
	.p2align	8
	.type	_Z4initPfi,@function
_Z4initPfi:                             ; @_Z4initPfi
; %bb.0:
	s_load_dword s1, s[4:5], 0x1c
	s_load_dword s0, s[4:5], 0x8
	s_waitcnt lgkmcnt(0)
	s_and_b32 s1, s1, 0xffff
	s_mul_i32 s6, s6, s1
	v_add_u32_e32 v0, s6, v0
	v_cmp_gt_i32_e32 vcc, s0, v0
	s_and_saveexec_b64 s[2:3], vcc
	s_cbranch_execz .LBB1_2
; %bb.1:
	v_xor_b32_e32 v1, s0, v0
	s_mov_b32 s0, 0x1984a2d
	v_mad_u64_u32 v[2:3], s[0:1], v1, s0, 1
	v_and_b32_e32 v1, 0x7fffffff, v2
	v_cvt_f32_u32_e32 v1, v1
	s_load_dwordx2 s[0:1], s[4:5], 0x0
	v_mul_f32_e32 v2, 0x30000000, v1
	v_ashrrev_i32_e32 v1, 31, v0
	v_lshlrev_b64 v[0:1], 2, v[0:1]
	s_waitcnt lgkmcnt(0)
	v_mov_b32_e32 v3, s1
	v_add_co_u32_e32 v0, vcc, s0, v0
	v_addc_co_u32_e32 v1, vcc, v3, v1, vcc
	global_store_dword v[0:1], v2, off
.LBB1_2:
	s_endpgm
	.section	.rodata,"a",@progbits
	.p2align	6, 0x0
	.amdhsa_kernel _Z4initPfi
		.amdhsa_group_segment_fixed_size 0
		.amdhsa_private_segment_fixed_size 0
		.amdhsa_kernarg_size 272
		.amdhsa_user_sgpr_count 6
		.amdhsa_user_sgpr_private_segment_buffer 1
		.amdhsa_user_sgpr_dispatch_ptr 0
		.amdhsa_user_sgpr_queue_ptr 0
		.amdhsa_user_sgpr_kernarg_segment_ptr 1
		.amdhsa_user_sgpr_dispatch_id 0
		.amdhsa_user_sgpr_flat_scratch_init 0
		.amdhsa_user_sgpr_kernarg_preload_length 0
		.amdhsa_user_sgpr_kernarg_preload_offset 0
		.amdhsa_user_sgpr_private_segment_size 0
		.amdhsa_uses_dynamic_stack 0
		.amdhsa_system_sgpr_private_segment_wavefront_offset 0
		.amdhsa_system_sgpr_workgroup_id_x 1
		.amdhsa_system_sgpr_workgroup_id_y 0
		.amdhsa_system_sgpr_workgroup_id_z 0
		.amdhsa_system_sgpr_workgroup_info 0
		.amdhsa_system_vgpr_workitem_id 0
		.amdhsa_next_free_vgpr 4
		.amdhsa_next_free_sgpr 7
		.amdhsa_accum_offset 4
		.amdhsa_reserve_vcc 1
		.amdhsa_reserve_flat_scratch 0
		.amdhsa_float_round_mode_32 0
		.amdhsa_float_round_mode_16_64 0
		.amdhsa_float_denorm_mode_32 3
		.amdhsa_float_denorm_mode_16_64 3
		.amdhsa_dx10_clamp 1
		.amdhsa_ieee_mode 1
		.amdhsa_fp16_overflow 0
		.amdhsa_tg_split 0
		.amdhsa_exception_fp_ieee_invalid_op 0
		.amdhsa_exception_fp_denorm_src 0
		.amdhsa_exception_fp_ieee_div_zero 0
		.amdhsa_exception_fp_ieee_overflow 0
		.amdhsa_exception_fp_ieee_underflow 0
		.amdhsa_exception_fp_ieee_inexact 0
		.amdhsa_exception_int_div_zero 0
	.end_amdhsa_kernel
	.text
.Lfunc_end1:
	.size	_Z4initPfi, .Lfunc_end1-_Z4initPfi
                                        ; -- End function
	.section	.AMDGPU.csdata,"",@progbits
; Kernel info:
; codeLenInByte = 136
; NumSgprs: 11
; NumVgprs: 4
; NumAgprs: 0
; TotalNumVgprs: 4
; ScratchSize: 0
; MemoryBound: 0
; FloatMode: 240
; IeeeMode: 1
; LDSByteSize: 0 bytes/workgroup (compile time only)
; SGPRBlocks: 1
; VGPRBlocks: 0
; NumSGPRsForWavesPerEU: 11
; NumVGPRsForWavesPerEU: 4
; AccumOffset: 4
; Occupancy: 8
; WaveLimiterHint : 0
; COMPUTE_PGM_RSRC2:SCRATCH_EN: 0
; COMPUTE_PGM_RSRC2:USER_SGPR: 6
; COMPUTE_PGM_RSRC2:TRAP_HANDLER: 0
; COMPUTE_PGM_RSRC2:TGID_X_EN: 1
; COMPUTE_PGM_RSRC2:TGID_Y_EN: 0
; COMPUTE_PGM_RSRC2:TGID_Z_EN: 0
; COMPUTE_PGM_RSRC2:TIDIG_COMP_CNT: 0
; COMPUTE_PGM_RSRC3_GFX90A:ACCUM_OFFSET: 0
; COMPUTE_PGM_RSRC3_GFX90A:TG_SPLIT: 0
	.text
	.p2alignl 6, 3212836864
	.fill 256, 4, 3212836864
	.type	__hip_cuid_262547335e63bdac,@object ; @__hip_cuid_262547335e63bdac
	.section	.bss,"aw",@nobits
	.globl	__hip_cuid_262547335e63bdac
__hip_cuid_262547335e63bdac:
	.byte	0                               ; 0x0
	.size	__hip_cuid_262547335e63bdac, 1

	.ident	"AMD clang version 19.0.0git (https://github.com/RadeonOpenCompute/llvm-project roc-6.4.0 25133 c7fe45cf4b819c5991fe208aaa96edf142730f1d)"
	.section	".note.GNU-stack","",@progbits
	.addrsig
	.addrsig_sym __hip_cuid_262547335e63bdac
	.amdgpu_metadata
---
amdhsa.kernels:
  - .agpr_count:     0
    .args:
      - .offset:         0
        .size:           4
        .value_kind:     by_value
      - .offset:         4
        .size:           4
        .value_kind:     by_value
      - .actual_access:  read_only
        .address_space:  global
        .offset:         8
        .size:           8
        .value_kind:     global_buffer
      - .actual_access:  read_only
        .address_space:  global
        .offset:         16
        .size:           8
        .value_kind:     global_buffer
      - .actual_access:  read_only
        .address_space:  global
        .offset:         24
        .size:           8
        .value_kind:     global_buffer
      - .actual_access:  write_only
        .address_space:  global
        .offset:         32
        .size:           8
        .value_kind:     global_buffer
      - .actual_access:  write_only
        .address_space:  global
        .offset:         40
        .size:           8
        .value_kind:     global_buffer
      - .actual_access:  write_only
        .address_space:  global
        .offset:         48
        .size:           8
        .value_kind:     global_buffer
      - .actual_access:  read_only
        .address_space:  global
        .offset:         56
        .size:           8
        .value_kind:     global_buffer
      - .actual_access:  write_only
        .address_space:  global
        .offset:         64
        .size:           8
        .value_kind:     global_buffer
      - .offset:         72
        .size:           4
        .value_kind:     hidden_block_count_x
      - .offset:         76
        .size:           4
        .value_kind:     hidden_block_count_y
      - .offset:         80
        .size:           4
        .value_kind:     hidden_block_count_z
      - .offset:         84
        .size:           2
        .value_kind:     hidden_group_size_x
      - .offset:         86
        .size:           2
        .value_kind:     hidden_group_size_y
      - .offset:         88
        .size:           2
        .value_kind:     hidden_group_size_z
      - .offset:         90
        .size:           2
        .value_kind:     hidden_remainder_x
      - .offset:         92
        .size:           2
        .value_kind:     hidden_remainder_y
      - .offset:         94
        .size:           2
        .value_kind:     hidden_remainder_z
      - .offset:         112
        .size:           8
        .value_kind:     hidden_global_offset_x
      - .offset:         120
        .size:           8
        .value_kind:     hidden_global_offset_y
      - .offset:         128
        .size:           8
        .value_kind:     hidden_global_offset_z
      - .offset:         136
        .size:           2
        .value_kind:     hidden_grid_dims
    .group_segment_fixed_size: 0
    .kernarg_segment_align: 8
    .kernarg_segment_size: 328
    .language:       OpenCL C
    .language_version:
      - 2
      - 0
    .max_flat_workgroup_size: 1024
    .name:           _Z11elementwiseiiPKfS0_S0_PfS1_S1_S0_S1_
    .private_segment_fixed_size: 0
    .sgpr_count:     20
    .sgpr_spill_count: 0
    .symbol:         _Z11elementwiseiiPKfS0_S0_PfS1_S1_S0_S1_.kd
    .uniform_work_group_size: 1
    .uses_dynamic_stack: false
    .vgpr_count:     33
    .vgpr_spill_count: 0
    .wavefront_size: 64
  - .agpr_count:     0
    .args:
      - .address_space:  global
        .offset:         0
        .size:           8
        .value_kind:     global_buffer
      - .offset:         8
        .size:           4
        .value_kind:     by_value
      - .offset:         16
        .size:           4
        .value_kind:     hidden_block_count_x
      - .offset:         20
        .size:           4
        .value_kind:     hidden_block_count_y
      - .offset:         24
        .size:           4
        .value_kind:     hidden_block_count_z
      - .offset:         28
        .size:           2
        .value_kind:     hidden_group_size_x
      - .offset:         30
        .size:           2
        .value_kind:     hidden_group_size_y
      - .offset:         32
        .size:           2
        .value_kind:     hidden_group_size_z
      - .offset:         34
        .size:           2
        .value_kind:     hidden_remainder_x
      - .offset:         36
        .size:           2
        .value_kind:     hidden_remainder_y
      - .offset:         38
        .size:           2
        .value_kind:     hidden_remainder_z
      - .offset:         56
        .size:           8
        .value_kind:     hidden_global_offset_x
      - .offset:         64
        .size:           8
        .value_kind:     hidden_global_offset_y
      - .offset:         72
        .size:           8
        .value_kind:     hidden_global_offset_z
      - .offset:         80
        .size:           2
        .value_kind:     hidden_grid_dims
    .group_segment_fixed_size: 0
    .kernarg_segment_align: 8
    .kernarg_segment_size: 272
    .language:       OpenCL C
    .language_version:
      - 2
      - 0
    .max_flat_workgroup_size: 1024
    .name:           _Z4initPfi
    .private_segment_fixed_size: 0
    .sgpr_count:     11
    .sgpr_spill_count: 0
    .symbol:         _Z4initPfi.kd
    .uniform_work_group_size: 1
    .uses_dynamic_stack: false
    .vgpr_count:     4
    .vgpr_spill_count: 0
    .wavefront_size: 64
amdhsa.target:   amdgcn-amd-amdhsa--gfx90a
amdhsa.version:
  - 1
  - 2
...

	.end_amdgpu_metadata
